;; amdgpu-corpus repo=zjin-lcf/HeCBench kind=compiled arch=gfx906 opt=O3
	.amdgcn_target "amdgcn-amd-amdhsa--gfx906"
	.amdhsa_code_object_version 6
	.text
	.protected	_Z10base64_encPKhPhcmj  ; -- Begin function _Z10base64_encPKhPhcmj
	.globl	_Z10base64_encPKhPhcmj
	.p2align	8
	.type	_Z10base64_encPKhPhcmj,@function
_Z10base64_encPKhPhcmj:                 ; @_Z10base64_encPKhPhcmj
; %bb.0:
	s_load_dword s2, s[4:5], 0x34
	s_load_dword s3, s[4:5], 0x20
	s_load_dwordx2 s[0:1], s[4:5], 0x18
	v_mov_b32_e32 v1, 0
	s_waitcnt lgkmcnt(0)
	s_and_b32 s2, s2, 0xffff
	s_mul_i32 s2, s6, s2
	s_add_i32 s2, s2, s3
	v_add_u32_e32 v0, s2, v0
	v_cmp_gt_u64_e32 vcc, s[0:1], v[0:1]
	s_and_saveexec_b64 s[2:3], vcc
	s_cbranch_execz .LBB0_9
; %bb.1:
	s_load_dwordx2 s[2:3], s[4:5], 0x0
	s_load_dword s6, s[4:5], 0x10
	s_waitcnt lgkmcnt(0)
	v_mad_u64_u32 v[3:4], s[2:3], v0, 3, s[2:3]
	s_and_b32 s10, s6, 0xff
	s_cmp_eq_u32 s10, 0
	global_load_ushort v5, v[3:4], off
	global_load_sbyte v2, v[3:4], off offset:2
	s_cselect_b64 s[2:3], -1, 0
	s_add_u32 s0, s0, -1
	s_addc_u32 s1, s1, -1
	v_cmp_ne_u64_e32 vcc, s[0:1], v[0:1]
	s_getpc_b64 s[8:9]
	s_add_u32 s8, s8, __const._Z10base64_encPKhPhcmj.base64chars@rel32@lo+4
	s_addc_u32 s9, s9, __const._Z10base64_encPKhPhcmj.base64chars@rel32@hi+12
	s_or_b64 s[2:3], s[2:3], vcc
	s_cmp_lg_u32 s10, 1
	v_cmp_eq_u64_e64 s[0:1], s[0:1], v[0:1]
	s_cselect_b64 s[6:7], -1, 0
	s_cmp_eq_u32 s10, 1
	s_cselect_b64 s[10:11], -1, 0
	s_and_b64 s[0:1], s[10:11], s[0:1]
	s_waitcnt vmcnt(1)
	v_lshrrev_b32_e32 v6, 8, v5
	v_lshrrev_b16_e32 v4, 4, v6
	v_bfe_u32 v7, v5, 2, 6
	v_lshlrev_b32_e32 v3, 4, v5
	v_cndmask_b32_e64 v4, v4, 0, s[0:1]
	v_and_or_b32 v5, v3, 48, v4
	global_load_ubyte v3, v7, s[8:9]
	global_load_ubyte v4, v5, s[8:9]
                                        ; implicit-def: $vgpr5
	s_and_saveexec_b64 s[0:1], s[2:3]
	s_xor_b64 s[0:1], exec, s[0:1]
	s_cbranch_execz .LBB0_3
; %bb.2:
	v_lshlrev_b32_e32 v5, 2, v6
	v_and_b32_e32 v5, 60, v5
	s_waitcnt vmcnt(2)
	v_lshrrev_b16_e32 v6, 6, v2
	v_and_b32_e32 v6, 3, v6
	v_mov_b32_e32 v7, s9
	v_add_co_u32_e32 v5, vcc, s8, v5
	v_and_b32_e32 v6, 0xffff, v6
	v_addc_co_u32_e32 v7, vcc, 0, v7, vcc
	v_add_co_u32_e32 v5, vcc, v5, v6
	v_addc_co_u32_e32 v6, vcc, 0, v7, vcc
	global_load_ubyte v5, v[5:6], off
                                        ; implicit-def: $vgpr6
.LBB0_3:
	s_or_saveexec_b64 s[8:9], s[0:1]
	s_load_dwordx2 s[0:1], s[4:5], 0x8
	s_xor_b64 exec, exec, s[8:9]
	s_cbranch_execz .LBB0_6
; %bb.4:
	s_andn2_b64 vcc, exec, s[6:7]
	s_waitcnt vmcnt(0)
	v_mov_b32_e32 v5, 61
	s_cbranch_vccnz .LBB0_6
; %bb.5:
	v_lshlrev_b32_e32 v5, 2, v6
	v_and_b32_e32 v5, 60, v5
	s_getpc_b64 s[4:5]
	s_add_u32 s4, s4, __const._Z10base64_encPKhPhcmj.base64chars@rel32@lo+4
	s_addc_u32 s5, s5, __const._Z10base64_encPKhPhcmj.base64chars@rel32@hi+12
	global_load_ubyte v5, v5, s[4:5]
.LBB0_6:
	s_or_b64 exec, exec, s[8:9]
	v_mov_b32_e32 v6, 61
	s_and_saveexec_b64 s[4:5], s[2:3]
	s_cbranch_execz .LBB0_8
; %bb.7:
	s_waitcnt vmcnt(2)
	v_and_b32_e32 v2, 63, v2
	s_getpc_b64 s[2:3]
	s_add_u32 s2, s2, __const._Z10base64_encPKhPhcmj.base64chars@rel32@lo+4
	s_addc_u32 s3, s3, __const._Z10base64_encPKhPhcmj.base64chars@rel32@hi+12
	v_mov_b32_e32 v7, s3
	v_add_co_u32_e32 v6, vcc, s2, v2
	v_addc_co_u32_e32 v7, vcc, 0, v7, vcc
	global_load_ubyte v6, v[6:7], off
.LBB0_8:
	s_or_b64 exec, exec, s[4:5]
	v_lshlrev_b64 v[0:1], 2, v[0:1]
	s_waitcnt vmcnt(2) lgkmcnt(0)
	v_mov_b32_e32 v2, s1
	v_add_co_u32_e32 v0, vcc, s0, v0
	s_mov_b32 s0, 0xc0c0004
	v_addc_co_u32_e32 v1, vcc, v2, v1, vcc
	s_waitcnt vmcnt(0)
	v_perm_b32 v2, v3, v4, s0
	v_perm_b32 v3, v5, v6, s0
	v_lshl_or_b32 v2, v3, 16, v2
	global_store_dword v[0:1], v2, off
.LBB0_9:
	s_endpgm
	.section	.rodata,"a",@progbits
	.p2align	6, 0x0
	.amdhsa_kernel _Z10base64_encPKhPhcmj
		.amdhsa_group_segment_fixed_size 0
		.amdhsa_private_segment_fixed_size 0
		.amdhsa_kernarg_size 296
		.amdhsa_user_sgpr_count 6
		.amdhsa_user_sgpr_private_segment_buffer 1
		.amdhsa_user_sgpr_dispatch_ptr 0
		.amdhsa_user_sgpr_queue_ptr 0
		.amdhsa_user_sgpr_kernarg_segment_ptr 1
		.amdhsa_user_sgpr_dispatch_id 0
		.amdhsa_user_sgpr_flat_scratch_init 0
		.amdhsa_user_sgpr_private_segment_size 0
		.amdhsa_uses_dynamic_stack 0
		.amdhsa_system_sgpr_private_segment_wavefront_offset 0
		.amdhsa_system_sgpr_workgroup_id_x 1
		.amdhsa_system_sgpr_workgroup_id_y 0
		.amdhsa_system_sgpr_workgroup_id_z 0
		.amdhsa_system_sgpr_workgroup_info 0
		.amdhsa_system_vgpr_workitem_id 0
		.amdhsa_next_free_vgpr 8
		.amdhsa_next_free_sgpr 12
		.amdhsa_reserve_vcc 1
		.amdhsa_reserve_flat_scratch 0
		.amdhsa_float_round_mode_32 0
		.amdhsa_float_round_mode_16_64 0
		.amdhsa_float_denorm_mode_32 3
		.amdhsa_float_denorm_mode_16_64 3
		.amdhsa_dx10_clamp 1
		.amdhsa_ieee_mode 1
		.amdhsa_fp16_overflow 0
		.amdhsa_exception_fp_ieee_invalid_op 0
		.amdhsa_exception_fp_denorm_src 0
		.amdhsa_exception_fp_ieee_div_zero 0
		.amdhsa_exception_fp_ieee_overflow 0
		.amdhsa_exception_fp_ieee_underflow 0
		.amdhsa_exception_fp_ieee_inexact 0
		.amdhsa_exception_int_div_zero 0
	.end_amdhsa_kernel
	.text
.Lfunc_end0:
	.size	_Z10base64_encPKhPhcmj, .Lfunc_end0-_Z10base64_encPKhPhcmj
                                        ; -- End function
	.set _Z10base64_encPKhPhcmj.num_vgpr, 8
	.set _Z10base64_encPKhPhcmj.num_agpr, 0
	.set _Z10base64_encPKhPhcmj.numbered_sgpr, 12
	.set _Z10base64_encPKhPhcmj.num_named_barrier, 0
	.set _Z10base64_encPKhPhcmj.private_seg_size, 0
	.set _Z10base64_encPKhPhcmj.uses_vcc, 1
	.set _Z10base64_encPKhPhcmj.uses_flat_scratch, 0
	.set _Z10base64_encPKhPhcmj.has_dyn_sized_stack, 0
	.set _Z10base64_encPKhPhcmj.has_recursion, 0
	.set _Z10base64_encPKhPhcmj.has_indirect_call, 0
	.section	.AMDGPU.csdata,"",@progbits
; Kernel info:
; codeLenInByte = 524
; TotalNumSgprs: 16
; NumVgprs: 8
; ScratchSize: 0
; MemoryBound: 0
; FloatMode: 240
; IeeeMode: 1
; LDSByteSize: 0 bytes/workgroup (compile time only)
; SGPRBlocks: 1
; VGPRBlocks: 1
; NumSGPRsForWavesPerEU: 16
; NumVGPRsForWavesPerEU: 8
; Occupancy: 10
; WaveLimiterHint : 0
; COMPUTE_PGM_RSRC2:SCRATCH_EN: 0
; COMPUTE_PGM_RSRC2:USER_SGPR: 6
; COMPUTE_PGM_RSRC2:TRAP_HANDLER: 0
; COMPUTE_PGM_RSRC2:TGID_X_EN: 1
; COMPUTE_PGM_RSRC2:TGID_Y_EN: 0
; COMPUTE_PGM_RSRC2:TGID_Z_EN: 0
; COMPUTE_PGM_RSRC2:TIDIG_COMP_CNT: 0
	.section	.AMDGPU.gpr_maximums,"",@progbits
	.set amdgpu.max_num_vgpr, 0
	.set amdgpu.max_num_agpr, 0
	.set amdgpu.max_num_sgpr, 0
	.section	.AMDGPU.csdata,"",@progbits
	.type	__const._Z10base64_encPKhPhcmj.base64chars,@object ; @__const._Z10base64_encPKhPhcmj.base64chars
	.section	.rodata.str1.16,"aMS",@progbits,1
	.p2align	4, 0x0
__const._Z10base64_encPKhPhcmj.base64chars:
	.asciz	"ABCDEFGHIJKLMNOPQRSTUVWXYZabcdefghijklmnopqrstuvwxyz0123456789+/"
	.size	__const._Z10base64_encPKhPhcmj.base64chars, 65

	.type	__hip_cuid_51cbf51f6e2ea82a,@object ; @__hip_cuid_51cbf51f6e2ea82a
	.section	.bss,"aw",@nobits
	.globl	__hip_cuid_51cbf51f6e2ea82a
__hip_cuid_51cbf51f6e2ea82a:
	.byte	0                               ; 0x0
	.size	__hip_cuid_51cbf51f6e2ea82a, 1

	.ident	"AMD clang version 22.0.0git (https://github.com/RadeonOpenCompute/llvm-project roc-7.2.4 26084 f58b06dce1f9c15707c5f808fd002e18c2accf7e)"
	.section	".note.GNU-stack","",@progbits
	.addrsig
	.addrsig_sym __hip_cuid_51cbf51f6e2ea82a
	.amdgpu_metadata
---
amdhsa.kernels:
  - .args:
      - .actual_access:  read_only
        .address_space:  global
        .offset:         0
        .size:           8
        .value_kind:     global_buffer
      - .actual_access:  write_only
        .address_space:  global
        .offset:         8
        .size:           8
        .value_kind:     global_buffer
      - .offset:         16
        .size:           1
        .value_kind:     by_value
      - .offset:         24
        .size:           8
        .value_kind:     by_value
      - .offset:         32
        .size:           4
        .value_kind:     by_value
      - .offset:         40
        .size:           4
        .value_kind:     hidden_block_count_x
      - .offset:         44
        .size:           4
        .value_kind:     hidden_block_count_y
      - .offset:         48
        .size:           4
        .value_kind:     hidden_block_count_z
      - .offset:         52
        .size:           2
        .value_kind:     hidden_group_size_x
      - .offset:         54
        .size:           2
        .value_kind:     hidden_group_size_y
      - .offset:         56
        .size:           2
        .value_kind:     hidden_group_size_z
      - .offset:         58
        .size:           2
        .value_kind:     hidden_remainder_x
      - .offset:         60
        .size:           2
        .value_kind:     hidden_remainder_y
      - .offset:         62
        .size:           2
        .value_kind:     hidden_remainder_z
      - .offset:         80
        .size:           8
        .value_kind:     hidden_global_offset_x
      - .offset:         88
        .size:           8
        .value_kind:     hidden_global_offset_y
      - .offset:         96
        .size:           8
        .value_kind:     hidden_global_offset_z
      - .offset:         104
        .size:           2
        .value_kind:     hidden_grid_dims
    .group_segment_fixed_size: 0
    .kernarg_segment_align: 8
    .kernarg_segment_size: 296
    .language:       OpenCL C
    .language_version:
      - 2
      - 0
    .max_flat_workgroup_size: 1024
    .name:           _Z10base64_encPKhPhcmj
    .private_segment_fixed_size: 0
    .sgpr_count:     16
    .sgpr_spill_count: 0
    .symbol:         _Z10base64_encPKhPhcmj.kd
    .uniform_work_group_size: 1
    .uses_dynamic_stack: false
    .vgpr_count:     8
    .vgpr_spill_count: 0
    .wavefront_size: 64
amdhsa.target:   amdgcn-amd-amdhsa--gfx906
amdhsa.version:
  - 1
  - 2
...

	.end_amdgpu_metadata
